;; amdgpu-corpus repo=zjin-lcf/HeCBench kind=compiled arch=gfx906 opt=O3
	.amdgcn_target "amdgcn-amd-amdhsa--gfx906"
	.amdhsa_code_object_version 6
	.text
	.protected	_Z2k1PKcPi              ; -- Begin function _Z2k1PKcPi
	.globl	_Z2k1PKcPi
	.p2align	8
	.type	_Z2k1PKcPi,@function
_Z2k1PKcPi:                             ; @_Z2k1PKcPi
; %bb.0:
	s_load_dwordx4 s[0:3], s[4:5], 0x0
	s_mov_b32 s10, s7
	s_mul_i32 s4, s6, 0xe0
	s_lshl_b32 s8, s6, 12
	s_lshl_b32 s9, s10, 12
	s_ashr_i32 s5, s4, 31
	s_ashr_i32 s7, s8, 31
	;; [unrolled: 1-line block ×3, first 2 shown]
	s_lshl_b64 s[4:5], s[4:5], 2
	s_waitcnt lgkmcnt(0)
	s_add_u32 s4, s2, s4
	s_addc_u32 s5, s3, s5
	s_ashr_i32 s11, s10, 31
	s_lshl_b64 s[2:3], s[10:11], 2
	s_add_u32 s2, s4, s2
	v_lshlrev_b32_e32 v0, 2, v0
	s_addc_u32 s3, s5, s3
	s_mov_b64 s[4:5], 0
	v_mov_b32_e32 v1, 0
	v_mov_b32_e32 v2, s1
	;; [unrolled: 1-line block ×3, first 2 shown]
	s_movk_i32 s1, 0xff
	v_mov_b32_e32 v4, s12
	s_movk_i32 s10, 0xdff
	s_branch .LBB0_2
.LBB0_1:                                ;   in Loop: Header=BB0_2 Depth=1
	s_or_b64 exec, exec, s[6:7]
	v_add_u32_e32 v5, 0x200, v0
	v_cmp_lt_u32_e32 vcc, s10, v0
	s_or_b64 s[4:5], vcc, s[4:5]
	v_mov_b32_e32 v0, v5
	s_andn2_b64 exec, exec, s[4:5]
	s_cbranch_execz .LBB0_6
.LBB0_2:                                ; =>This Loop Header: Depth=1
                                        ;     Child Loop BB0_3 Depth 2
	v_add_co_u32_e32 v7, vcc, s0, v0
	v_addc_co_u32_e32 v8, vcc, 0, v2, vcc
	v_add_co_u32_e32 v5, vcc, s8, v7
	v_addc_co_u32_e32 v6, vcc, v8, v3, vcc
	global_load_dword v9, v[5:6], off
	v_add_co_u32_e32 v5, vcc, s9, v7
	v_addc_co_u32_e32 v6, vcc, v8, v4, vcc
	global_load_dword v5, v[5:6], off
	s_mov_b64 s[6:7], exec
	s_mov_b32 s11, 0
	s_waitcnt vmcnt(1)
	v_and_b32_sdwa v7, v9, s1 dst_sel:DWORD dst_unused:UNUSED_PAD src0_sel:WORD_1 src1_sel:DWORD
	v_lshrrev_b32_e32 v6, 8, v9
	s_waitcnt vmcnt(0)
	v_and_b32_sdwa v10, v5, s1 dst_sel:DWORD dst_unused:UNUSED_PAD src0_sel:WORD_1 src1_sel:DWORD
	v_lshrrev_b32_e32 v8, 8, v5
	v_cmp_ne_u16_sdwa s[12:13], v9, v5 src0_sel:BYTE_0 src1_sel:BYTE_0
	v_cmp_ne_u16_e32 vcc, v7, v10
	v_cndmask_b32_e64 v11, 0, 1, s[12:13]
	v_cndmask_b32_e64 v12, 1, 2, s[12:13]
	v_cndmask_b32_e64 v7, 0, 1, vcc
	v_cmp_eq_u16_sdwa vcc, v6, v8 src0_sel:BYTE_0 src1_sel:BYTE_0
	v_cndmask_b32_e32 v6, v12, v11, vcc
	v_cmp_ne_u16_sdwa vcc, v9, v5 src0_sel:BYTE_3 src1_sel:BYTE_3
	v_addc_co_u32_e32 v5, vcc, v6, v7, vcc
.LBB0_3:                                ;   Parent Loop BB0_2 Depth=1
                                        ; =>  This Inner Loop Header: Depth=2
	s_ff1_i32_b64 s12, s[6:7]
	v_readlane_b32 s14, v5, s12
	s_lshl_b64 s[12:13], 1, s12
	s_add_i32 s11, s11, s14
	s_andn2_b64 s[6:7], s[6:7], s[12:13]
	s_cmp_lg_u64 s[6:7], 0
	s_cbranch_scc1 .LBB0_3
; %bb.4:                                ;   in Loop: Header=BB0_2 Depth=1
	v_mbcnt_lo_u32_b32 v5, exec_lo, 0
	v_mbcnt_hi_u32_b32 v5, exec_hi, v5
	v_cmp_eq_u32_e32 vcc, 0, v5
	s_and_saveexec_b64 s[6:7], vcc
	s_xor_b64 s[6:7], exec, s[6:7]
	s_cbranch_execz .LBB0_1
; %bb.5:                                ;   in Loop: Header=BB0_2 Depth=1
	v_mov_b32_e32 v5, s11
	global_atomic_add v1, v5, s[2:3]
	s_branch .LBB0_1
.LBB0_6:
	s_endpgm
	.section	.rodata,"a",@progbits
	.p2align	6, 0x0
	.amdhsa_kernel _Z2k1PKcPi
		.amdhsa_group_segment_fixed_size 0
		.amdhsa_private_segment_fixed_size 0
		.amdhsa_kernarg_size 16
		.amdhsa_user_sgpr_count 6
		.amdhsa_user_sgpr_private_segment_buffer 1
		.amdhsa_user_sgpr_dispatch_ptr 0
		.amdhsa_user_sgpr_queue_ptr 0
		.amdhsa_user_sgpr_kernarg_segment_ptr 1
		.amdhsa_user_sgpr_dispatch_id 0
		.amdhsa_user_sgpr_flat_scratch_init 0
		.amdhsa_user_sgpr_private_segment_size 0
		.amdhsa_uses_dynamic_stack 0
		.amdhsa_system_sgpr_private_segment_wavefront_offset 0
		.amdhsa_system_sgpr_workgroup_id_x 1
		.amdhsa_system_sgpr_workgroup_id_y 1
		.amdhsa_system_sgpr_workgroup_id_z 0
		.amdhsa_system_sgpr_workgroup_info 0
		.amdhsa_system_vgpr_workitem_id 0
		.amdhsa_next_free_vgpr 13
		.amdhsa_next_free_sgpr 15
		.amdhsa_reserve_vcc 1
		.amdhsa_reserve_flat_scratch 0
		.amdhsa_float_round_mode_32 0
		.amdhsa_float_round_mode_16_64 0
		.amdhsa_float_denorm_mode_32 3
		.amdhsa_float_denorm_mode_16_64 3
		.amdhsa_dx10_clamp 1
		.amdhsa_ieee_mode 1
		.amdhsa_fp16_overflow 0
		.amdhsa_exception_fp_ieee_invalid_op 0
		.amdhsa_exception_fp_denorm_src 0
		.amdhsa_exception_fp_ieee_div_zero 0
		.amdhsa_exception_fp_ieee_overflow 0
		.amdhsa_exception_fp_ieee_underflow 0
		.amdhsa_exception_fp_ieee_inexact 0
		.amdhsa_exception_int_div_zero 0
	.end_amdhsa_kernel
	.text
.Lfunc_end0:
	.size	_Z2k1PKcPi, .Lfunc_end0-_Z2k1PKcPi
                                        ; -- End function
	.set _Z2k1PKcPi.num_vgpr, 13
	.set _Z2k1PKcPi.num_agpr, 0
	.set _Z2k1PKcPi.numbered_sgpr, 15
	.set _Z2k1PKcPi.num_named_barrier, 0
	.set _Z2k1PKcPi.private_seg_size, 0
	.set _Z2k1PKcPi.uses_vcc, 1
	.set _Z2k1PKcPi.uses_flat_scratch, 0
	.set _Z2k1PKcPi.has_dyn_sized_stack, 0
	.set _Z2k1PKcPi.has_recursion, 0
	.set _Z2k1PKcPi.has_indirect_call, 0
	.section	.AMDGPU.csdata,"",@progbits
; Kernel info:
; codeLenInByte = 364
; TotalNumSgprs: 19
; NumVgprs: 13
; ScratchSize: 0
; MemoryBound: 0
; FloatMode: 240
; IeeeMode: 1
; LDSByteSize: 0 bytes/workgroup (compile time only)
; SGPRBlocks: 2
; VGPRBlocks: 3
; NumSGPRsForWavesPerEU: 19
; NumVGPRsForWavesPerEU: 13
; Occupancy: 10
; WaveLimiterHint : 0
; COMPUTE_PGM_RSRC2:SCRATCH_EN: 0
; COMPUTE_PGM_RSRC2:USER_SGPR: 6
; COMPUTE_PGM_RSRC2:TRAP_HANDLER: 0
; COMPUTE_PGM_RSRC2:TGID_X_EN: 1
; COMPUTE_PGM_RSRC2:TGID_Y_EN: 1
; COMPUTE_PGM_RSRC2:TGID_Z_EN: 0
; COMPUTE_PGM_RSRC2:TIDIG_COMP_CNT: 0
	.text
	.protected	_Z2k2PKcPi              ; -- Begin function _Z2k2PKcPi
	.globl	_Z2k2PKcPi
	.p2align	8
	.type	_Z2k2PKcPi,@function
_Z2k2PKcPi:                             ; @_Z2k2PKcPi
; %bb.0:
	s_load_dwordx4 s[0:3], s[4:5], 0x0
	s_lshl_b32 s4, s6, 12
	s_lshl_b32 s8, s7, 12
	v_lshlrev_b32_e32 v1, 2, v0
	v_mov_b32_e32 v2, 0
	s_ashr_i32 s5, s4, 31
	s_ashr_i32 s9, s8, 31
	ds_write_b32 v1, v2
	s_waitcnt lgkmcnt(0)
	s_barrier
	ds_read_b32 v2, v1
	s_add_u32 s10, s0, s4
	s_addc_u32 s11, s1, s5
	s_add_u32 s12, s0, s8
	s_addc_u32 s13, s1, s9
	s_movk_i32 s8, 0xfe00
	s_mov_b32 s9, -1
	s_mov_b64 s[4:5], 0
	s_movk_i32 s14, 0xff
	s_movk_i32 s15, 0xdff
.LBB1_1:                                ; =>This Inner Loop Header: Depth=1
	v_mov_b32_e32 v4, s11
	v_add_co_u32_e64 v5, s[0:1], s10, v1
	v_mov_b32_e32 v7, s13
	v_add_co_u32_e32 v3, vcc, s12, v1
	v_addc_co_u32_e64 v6, s[0:1], 0, v4, s[0:1]
	v_addc_co_u32_e32 v4, vcc, 0, v7, vcc
	global_load_dword v7, v[5:6], off
	global_load_dword v8, v[3:4], off
	s_add_u32 s8, s8, 0x200
	s_addc_u32 s9, s9, 0
	s_add_u32 s10, s10, 0x200
	s_addc_u32 s11, s11, 0
	v_add_u32_e32 v3, s8, v1
	s_add_u32 s12, s12, 0x200
	v_cmp_lt_u32_e32 vcc, s15, v3
	s_addc_u32 s13, s13, 0
	s_or_b64 s[4:5], vcc, s[4:5]
	s_waitcnt vmcnt(1)
	v_lshrrev_b32_e32 v3, 8, v7
	s_waitcnt vmcnt(0)
	v_lshrrev_b32_e32 v5, 8, v8
	v_cmp_ne_u16_sdwa s[0:1], v7, v8 src0_sel:BYTE_0 src1_sel:BYTE_0
	v_and_b32_sdwa v4, v7, s14 dst_sel:DWORD dst_unused:UNUSED_PAD src0_sel:WORD_1 src1_sel:DWORD
	v_and_b32_sdwa v6, v8, s14 dst_sel:DWORD dst_unused:UNUSED_PAD src0_sel:WORD_1 src1_sel:DWORD
	v_cndmask_b32_e64 v9, 0, 1, s[0:1]
	v_cndmask_b32_e64 v10, 1, 2, s[0:1]
	v_cmp_eq_u16_sdwa vcc, v3, v5 src0_sel:BYTE_0 src1_sel:BYTE_0
	v_cndmask_b32_e32 v3, v10, v9, vcc
	v_cmp_ne_u16_e32 vcc, v4, v6
	v_addc_co_u32_e32 v3, vcc, 0, v3, vcc
	v_cmp_ne_u16_sdwa vcc, v7, v8 src0_sel:BYTE_3 src1_sel:BYTE_3
	s_waitcnt lgkmcnt(0)
	v_addc_co_u32_e32 v2, vcc, v3, v2, vcc
	s_andn2_b64 exec, exec, s[4:5]
	s_cbranch_execnz .LBB1_1
; %bb.2:
	s_or_b64 exec, exec, s[4:5]
	v_cmp_gt_u32_e32 vcc, 64, v0
	ds_write_b32 v1, v2
	s_waitcnt lgkmcnt(0)
	s_barrier
	s_and_saveexec_b64 s[0:1], vcc
	s_cbranch_execz .LBB1_4
; %bb.3:
	ds_read2st64_b32 v[2:3], v1 offset1:1
	s_waitcnt lgkmcnt(0)
	v_add_u32_e32 v2, v2, v3
	ds_write_b32 v1, v2
.LBB1_4:
	s_or_b64 exec, exec, s[0:1]
	v_cmp_gt_u32_e32 vcc, 32, v0
	s_waitcnt lgkmcnt(0)
	s_barrier
	s_and_saveexec_b64 s[0:1], vcc
	s_cbranch_execz .LBB1_6
; %bb.5:
	ds_read2_b32 v[2:3], v1 offset1:32
	s_waitcnt lgkmcnt(0)
	v_add_u32_e32 v2, v2, v3
	ds_write_b32 v1, v2
.LBB1_6:
	s_or_b64 exec, exec, s[0:1]
	v_cmp_gt_u32_e32 vcc, 16, v0
	s_waitcnt lgkmcnt(0)
	s_barrier
	s_and_saveexec_b64 s[0:1], vcc
	s_cbranch_execz .LBB1_8
; %bb.7:
	ds_read2_b32 v[2:3], v1 offset1:16
	s_waitcnt lgkmcnt(0)
	v_add_u32_e32 v2, v2, v3
	ds_write_b32 v1, v2
.LBB1_8:
	;; [unrolled: 12-line block ×5, first 2 shown]
	s_or_b64 exec, exec, s[0:1]
	v_cmp_eq_u32_e32 vcc, 0, v0
	s_waitcnt lgkmcnt(0)
	s_barrier
	s_and_saveexec_b64 s[0:1], vcc
	s_cbranch_execz .LBB1_16
; %bb.15:
	ds_read2_b32 v[2:3], v1 offset1:1
	s_waitcnt lgkmcnt(0)
	v_add_u32_e32 v0, v2, v3
	ds_write_b32 v1, v0
.LBB1_16:
	s_or_b64 exec, exec, s[0:1]
	s_waitcnt lgkmcnt(0)
	s_barrier
	s_and_saveexec_b64 s[0:1], vcc
	s_cbranch_execz .LBB1_18
; %bb.17:
	s_mul_i32 s0, s7, 0xe0
	v_mov_b32_e32 v0, 0
	s_add_i32 s0, s0, s6
	ds_read_b32 v1, v0
	s_ashr_i32 s1, s0, 31
	s_lshl_b64 s[0:1], s[0:1], 2
	s_add_u32 s0, s2, s0
	s_addc_u32 s1, s3, s1
	s_waitcnt lgkmcnt(0)
	global_store_dword v0, v1, s[0:1]
.LBB1_18:
	s_endpgm
	.section	.rodata,"a",@progbits
	.p2align	6, 0x0
	.amdhsa_kernel _Z2k2PKcPi
		.amdhsa_group_segment_fixed_size 512
		.amdhsa_private_segment_fixed_size 0
		.amdhsa_kernarg_size 16
		.amdhsa_user_sgpr_count 6
		.amdhsa_user_sgpr_private_segment_buffer 1
		.amdhsa_user_sgpr_dispatch_ptr 0
		.amdhsa_user_sgpr_queue_ptr 0
		.amdhsa_user_sgpr_kernarg_segment_ptr 1
		.amdhsa_user_sgpr_dispatch_id 0
		.amdhsa_user_sgpr_flat_scratch_init 0
		.amdhsa_user_sgpr_private_segment_size 0
		.amdhsa_uses_dynamic_stack 0
		.amdhsa_system_sgpr_private_segment_wavefront_offset 0
		.amdhsa_system_sgpr_workgroup_id_x 1
		.amdhsa_system_sgpr_workgroup_id_y 1
		.amdhsa_system_sgpr_workgroup_id_z 0
		.amdhsa_system_sgpr_workgroup_info 0
		.amdhsa_system_vgpr_workitem_id 0
		.amdhsa_next_free_vgpr 11
		.amdhsa_next_free_sgpr 16
		.amdhsa_reserve_vcc 1
		.amdhsa_reserve_flat_scratch 0
		.amdhsa_float_round_mode_32 0
		.amdhsa_float_round_mode_16_64 0
		.amdhsa_float_denorm_mode_32 3
		.amdhsa_float_denorm_mode_16_64 3
		.amdhsa_dx10_clamp 1
		.amdhsa_ieee_mode 1
		.amdhsa_fp16_overflow 0
		.amdhsa_exception_fp_ieee_invalid_op 0
		.amdhsa_exception_fp_denorm_src 0
		.amdhsa_exception_fp_ieee_div_zero 0
		.amdhsa_exception_fp_ieee_overflow 0
		.amdhsa_exception_fp_ieee_underflow 0
		.amdhsa_exception_fp_ieee_inexact 0
		.amdhsa_exception_int_div_zero 0
	.end_amdhsa_kernel
	.text
.Lfunc_end1:
	.size	_Z2k2PKcPi, .Lfunc_end1-_Z2k2PKcPi
                                        ; -- End function
	.set _Z2k2PKcPi.num_vgpr, 11
	.set _Z2k2PKcPi.num_agpr, 0
	.set _Z2k2PKcPi.numbered_sgpr, 16
	.set _Z2k2PKcPi.num_named_barrier, 0
	.set _Z2k2PKcPi.private_seg_size, 0
	.set _Z2k2PKcPi.uses_vcc, 1
	.set _Z2k2PKcPi.uses_flat_scratch, 0
	.set _Z2k2PKcPi.has_dyn_sized_stack, 0
	.set _Z2k2PKcPi.has_recursion, 0
	.set _Z2k2PKcPi.has_indirect_call, 0
	.section	.AMDGPU.csdata,"",@progbits
; Kernel info:
; codeLenInByte = 708
; TotalNumSgprs: 20
; NumVgprs: 11
; ScratchSize: 0
; MemoryBound: 0
; FloatMode: 240
; IeeeMode: 1
; LDSByteSize: 512 bytes/workgroup (compile time only)
; SGPRBlocks: 2
; VGPRBlocks: 2
; NumSGPRsForWavesPerEU: 20
; NumVGPRsForWavesPerEU: 11
; Occupancy: 10
; WaveLimiterHint : 0
; COMPUTE_PGM_RSRC2:SCRATCH_EN: 0
; COMPUTE_PGM_RSRC2:USER_SGPR: 6
; COMPUTE_PGM_RSRC2:TRAP_HANDLER: 0
; COMPUTE_PGM_RSRC2:TGID_X_EN: 1
; COMPUTE_PGM_RSRC2:TGID_Y_EN: 1
; COMPUTE_PGM_RSRC2:TGID_Z_EN: 0
; COMPUTE_PGM_RSRC2:TIDIG_COMP_CNT: 0
	.text
	.protected	_Z2k3PKcPi              ; -- Begin function _Z2k3PKcPi
	.globl	_Z2k3PKcPi
	.p2align	8
	.type	_Z2k3PKcPi,@function
_Z2k3PKcPi:                             ; @_Z2k3PKcPi
; %bb.0:
	s_load_dwordx4 s[0:3], s[4:5], 0x0
	s_lshl_b32 s4, s6, 12
	s_lshl_b32 s8, s7, 12
	s_ashr_i32 s5, s4, 31
	s_ashr_i32 s9, s8, 31
	s_waitcnt lgkmcnt(0)
	s_add_u32 s10, s0, s4
	s_addc_u32 s11, s1, s5
	s_add_u32 s12, s0, s8
	s_addc_u32 s13, s1, s9
	s_movk_i32 s8, 0xfe00
	v_lshlrev_b32_e32 v2, 2, v0
	v_mov_b32_e32 v1, 0
	s_mov_b32 s9, -1
	s_mov_b64 s[4:5], 0
	s_movk_i32 s14, 0xff
	s_movk_i32 s15, 0xdff
.LBB2_1:                                ; =>This Inner Loop Header: Depth=1
	v_mov_b32_e32 v4, s11
	v_add_co_u32_e64 v5, s[0:1], s10, v2
	v_mov_b32_e32 v7, s13
	v_add_co_u32_e32 v3, vcc, s12, v2
	v_addc_co_u32_e64 v6, s[0:1], 0, v4, s[0:1]
	v_addc_co_u32_e32 v4, vcc, 0, v7, vcc
	global_load_dword v7, v[5:6], off
	global_load_dword v8, v[3:4], off
	s_add_u32 s8, s8, 0x200
	s_addc_u32 s9, s9, 0
	s_add_u32 s10, s10, 0x200
	s_addc_u32 s11, s11, 0
	v_add_u32_e32 v3, s8, v2
	s_add_u32 s12, s12, 0x200
	v_cmp_lt_u32_e32 vcc, s15, v3
	s_addc_u32 s13, s13, 0
	s_or_b64 s[4:5], vcc, s[4:5]
	s_waitcnt vmcnt(1)
	v_and_b32_sdwa v4, v7, s14 dst_sel:DWORD dst_unused:UNUSED_PAD src0_sel:WORD_1 src1_sel:DWORD
	s_waitcnt vmcnt(0)
	v_and_b32_sdwa v6, v8, s14 dst_sel:DWORD dst_unused:UNUSED_PAD src0_sel:WORD_1 src1_sel:DWORD
	v_lshrrev_b32_e32 v3, 8, v7
	v_lshrrev_b32_e32 v5, 8, v8
	v_cmp_ne_u16_sdwa s[0:1], v7, v8 src0_sel:BYTE_0 src1_sel:BYTE_0
	v_cmp_ne_u16_e32 vcc, v4, v6
	v_cndmask_b32_e64 v9, 0, 1, s[0:1]
	v_cndmask_b32_e64 v10, 1, 2, s[0:1]
	v_cndmask_b32_e64 v4, 0, 1, vcc
	v_cmp_eq_u16_sdwa vcc, v3, v5 src0_sel:BYTE_0 src1_sel:BYTE_0
	v_cndmask_b32_e32 v3, v10, v9, vcc
	v_add_u32_e32 v1, v3, v1
	v_cmp_ne_u16_sdwa vcc, v7, v8 src0_sel:BYTE_3 src1_sel:BYTE_3
	v_addc_co_u32_e32 v1, vcc, v1, v4, vcc
	s_andn2_b64 exec, exec, s[4:5]
	s_cbranch_execnz .LBB2_1
; %bb.2:
	s_or_b64 exec, exec, s[4:5]
	v_add_u32_dpp v1, v1, v1 quad_perm:[1,0,3,2] row_mask:0xf bank_mask:0xf bound_ctrl:1
	v_mbcnt_lo_u32_b32 v2, -1, 0
	v_mbcnt_hi_u32_b32 v2, -1, v2
	v_add_u32_dpp v1, v1, v1 quad_perm:[2,3,0,1] row_mask:0xf bank_mask:0xf bound_ctrl:1
	v_lshlrev_b32_e32 v3, 2, v2
	v_or_b32_e32 v4, 0xfc, v3
	v_add_u32_dpp v1, v1, v1 row_ror:4 row_mask:0xf bank_mask:0xf bound_ctrl:1
	v_cmp_eq_u32_e32 vcc, 0, v2
	s_nop 0
	v_add_u32_dpp v1, v1, v1 row_ror:8 row_mask:0xf bank_mask:0xf bound_ctrl:1
	s_nop 1
	v_add_u32_dpp v1, v1, v1 row_bcast:15 row_mask:0xf bank_mask:0xf bound_ctrl:1
	s_nop 1
	v_add_u32_dpp v1, v1, v1 row_bcast:31 row_mask:0xf bank_mask:0xf bound_ctrl:1
	ds_bpermute_b32 v1, v4, v1
	s_and_saveexec_b64 s[0:1], vcc
	s_cbranch_execz .LBB2_4
; %bb.3:
	v_lshrrev_b32_e32 v4, 4, v0
	v_and_b32_e32 v4, 60, v4
	s_waitcnt lgkmcnt(0)
	ds_write_b32 v4, v1
.LBB2_4:
	s_or_b64 exec, exec, s[0:1]
	v_cmp_gt_u32_e32 vcc, 64, v0
	s_waitcnt lgkmcnt(0)
	s_barrier
	s_and_saveexec_b64 s[0:1], vcc
	s_cbranch_execnz .LBB2_7
; %bb.5:
	s_or_b64 exec, exec, s[0:1]
	v_cmp_eq_u32_e32 vcc, 0, v0
	s_and_saveexec_b64 s[0:1], vcc
	s_cbranch_execnz .LBB2_8
.LBB2_6:
	s_endpgm
.LBB2_7:
	v_and_b32_e32 v1, 1, v2
	v_lshlrev_b32_e32 v1, 2, v1
	ds_read_b32 v1, v1
	v_or_b32_e32 v2, 4, v3
	s_waitcnt lgkmcnt(0)
	ds_bpermute_b32 v2, v2, v1
	s_waitcnt lgkmcnt(0)
	v_add_u32_e32 v1, v2, v1
	s_or_b64 exec, exec, s[0:1]
	v_cmp_eq_u32_e32 vcc, 0, v0
	s_and_saveexec_b64 s[0:1], vcc
	s_cbranch_execz .LBB2_6
.LBB2_8:
	s_mul_i32 s0, s7, 0xe0
	s_add_i32 s0, s0, s6
	s_ashr_i32 s1, s0, 31
	s_lshl_b64 s[0:1], s[0:1], 2
	s_add_u32 s0, s2, s0
	s_addc_u32 s1, s3, s1
	v_mov_b32_e32 v0, 0
	global_store_dword v0, v1, s[0:1]
	s_endpgm
	.section	.rodata,"a",@progbits
	.p2align	6, 0x0
	.amdhsa_kernel _Z2k3PKcPi
		.amdhsa_group_segment_fixed_size 8
		.amdhsa_private_segment_fixed_size 0
		.amdhsa_kernarg_size 16
		.amdhsa_user_sgpr_count 6
		.amdhsa_user_sgpr_private_segment_buffer 1
		.amdhsa_user_sgpr_dispatch_ptr 0
		.amdhsa_user_sgpr_queue_ptr 0
		.amdhsa_user_sgpr_kernarg_segment_ptr 1
		.amdhsa_user_sgpr_dispatch_id 0
		.amdhsa_user_sgpr_flat_scratch_init 0
		.amdhsa_user_sgpr_private_segment_size 0
		.amdhsa_uses_dynamic_stack 0
		.amdhsa_system_sgpr_private_segment_wavefront_offset 0
		.amdhsa_system_sgpr_workgroup_id_x 1
		.amdhsa_system_sgpr_workgroup_id_y 1
		.amdhsa_system_sgpr_workgroup_id_z 0
		.amdhsa_system_sgpr_workgroup_info 0
		.amdhsa_system_vgpr_workitem_id 0
		.amdhsa_next_free_vgpr 11
		.amdhsa_next_free_sgpr 16
		.amdhsa_reserve_vcc 1
		.amdhsa_reserve_flat_scratch 0
		.amdhsa_float_round_mode_32 0
		.amdhsa_float_round_mode_16_64 0
		.amdhsa_float_denorm_mode_32 3
		.amdhsa_float_denorm_mode_16_64 3
		.amdhsa_dx10_clamp 1
		.amdhsa_ieee_mode 1
		.amdhsa_fp16_overflow 0
		.amdhsa_exception_fp_ieee_invalid_op 0
		.amdhsa_exception_fp_denorm_src 0
		.amdhsa_exception_fp_ieee_div_zero 0
		.amdhsa_exception_fp_ieee_overflow 0
		.amdhsa_exception_fp_ieee_underflow 0
		.amdhsa_exception_fp_ieee_inexact 0
		.amdhsa_exception_int_div_zero 0
	.end_amdhsa_kernel
	.text
.Lfunc_end2:
	.size	_Z2k3PKcPi, .Lfunc_end2-_Z2k3PKcPi
                                        ; -- End function
	.set _Z2k3PKcPi.num_vgpr, 11
	.set _Z2k3PKcPi.num_agpr, 0
	.set _Z2k3PKcPi.numbered_sgpr, 16
	.set _Z2k3PKcPi.num_named_barrier, 0
	.set _Z2k3PKcPi.private_seg_size, 0
	.set _Z2k3PKcPi.uses_vcc, 1
	.set _Z2k3PKcPi.uses_flat_scratch, 0
	.set _Z2k3PKcPi.has_dyn_sized_stack, 0
	.set _Z2k3PKcPi.has_recursion, 0
	.set _Z2k3PKcPi.has_indirect_call, 0
	.section	.AMDGPU.csdata,"",@progbits
; Kernel info:
; codeLenInByte = 548
; TotalNumSgprs: 20
; NumVgprs: 11
; ScratchSize: 0
; MemoryBound: 0
; FloatMode: 240
; IeeeMode: 1
; LDSByteSize: 8 bytes/workgroup (compile time only)
; SGPRBlocks: 2
; VGPRBlocks: 2
; NumSGPRsForWavesPerEU: 20
; NumVGPRsForWavesPerEU: 11
; Occupancy: 10
; WaveLimiterHint : 0
; COMPUTE_PGM_RSRC2:SCRATCH_EN: 0
; COMPUTE_PGM_RSRC2:USER_SGPR: 6
; COMPUTE_PGM_RSRC2:TRAP_HANDLER: 0
; COMPUTE_PGM_RSRC2:TGID_X_EN: 1
; COMPUTE_PGM_RSRC2:TGID_Y_EN: 1
; COMPUTE_PGM_RSRC2:TGID_Z_EN: 0
; COMPUTE_PGM_RSRC2:TIDIG_COMP_CNT: 0
	.section	.AMDGPU.gpr_maximums,"",@progbits
	.set amdgpu.max_num_vgpr, 0
	.set amdgpu.max_num_agpr, 0
	.set amdgpu.max_num_sgpr, 0
	.section	.AMDGPU.csdata,"",@progbits
	.type	__hip_cuid_4393c71e6b61359e,@object ; @__hip_cuid_4393c71e6b61359e
	.section	.bss,"aw",@nobits
	.globl	__hip_cuid_4393c71e6b61359e
__hip_cuid_4393c71e6b61359e:
	.byte	0                               ; 0x0
	.size	__hip_cuid_4393c71e6b61359e, 1

	.ident	"AMD clang version 22.0.0git (https://github.com/RadeonOpenCompute/llvm-project roc-7.2.4 26084 f58b06dce1f9c15707c5f808fd002e18c2accf7e)"
	.section	".note.GNU-stack","",@progbits
	.addrsig
	.addrsig_sym __hip_cuid_4393c71e6b61359e
	.amdgpu_metadata
---
amdhsa.kernels:
  - .args:
      - .address_space:  global
        .offset:         0
        .size:           8
        .value_kind:     global_buffer
      - .address_space:  global
        .offset:         8
        .size:           8
        .value_kind:     global_buffer
    .group_segment_fixed_size: 0
    .kernarg_segment_align: 8
    .kernarg_segment_size: 16
    .language:       OpenCL C
    .language_version:
      - 2
      - 0
    .max_flat_workgroup_size: 1024
    .name:           _Z2k1PKcPi
    .private_segment_fixed_size: 0
    .sgpr_count:     19
    .sgpr_spill_count: 0
    .symbol:         _Z2k1PKcPi.kd
    .uniform_work_group_size: 1
    .uses_dynamic_stack: false
    .vgpr_count:     13
    .vgpr_spill_count: 0
    .wavefront_size: 64
  - .args:
      - .address_space:  global
        .offset:         0
        .size:           8
        .value_kind:     global_buffer
      - .address_space:  global
        .offset:         8
        .size:           8
        .value_kind:     global_buffer
    .group_segment_fixed_size: 512
    .kernarg_segment_align: 8
    .kernarg_segment_size: 16
    .language:       OpenCL C
    .language_version:
      - 2
      - 0
    .max_flat_workgroup_size: 1024
    .name:           _Z2k2PKcPi
    .private_segment_fixed_size: 0
    .sgpr_count:     20
    .sgpr_spill_count: 0
    .symbol:         _Z2k2PKcPi.kd
    .uniform_work_group_size: 1
    .uses_dynamic_stack: false
    .vgpr_count:     11
    .vgpr_spill_count: 0
    .wavefront_size: 64
  - .args:
      - .address_space:  global
        .offset:         0
        .size:           8
        .value_kind:     global_buffer
      - .address_space:  global
        .offset:         8
        .size:           8
        .value_kind:     global_buffer
    .group_segment_fixed_size: 8
    .kernarg_segment_align: 8
    .kernarg_segment_size: 16
    .language:       OpenCL C
    .language_version:
      - 2
      - 0
    .max_flat_workgroup_size: 1024
    .name:           _Z2k3PKcPi
    .private_segment_fixed_size: 0
    .sgpr_count:     20
    .sgpr_spill_count: 0
    .symbol:         _Z2k3PKcPi.kd
    .uniform_work_group_size: 1
    .uses_dynamic_stack: false
    .vgpr_count:     11
    .vgpr_spill_count: 0
    .wavefront_size: 64
amdhsa.target:   amdgcn-amd-amdhsa--gfx906
amdhsa.version:
  - 1
  - 2
...

	.end_amdgpu_metadata
